;; amdgpu-corpus repo=ROCm/rocFFT kind=compiled arch=gfx1201 opt=O3
	.text
	.amdgcn_target "amdgcn-amd-amdhsa--gfx1201"
	.amdhsa_code_object_version 6
	.protected	fft_rtc_back_len680_factors_17_4_10_wgs_204_tpt_68_halfLds_half_op_CI_CI_unitstride_sbrr_dirReg ; -- Begin function fft_rtc_back_len680_factors_17_4_10_wgs_204_tpt_68_halfLds_half_op_CI_CI_unitstride_sbrr_dirReg
	.globl	fft_rtc_back_len680_factors_17_4_10_wgs_204_tpt_68_halfLds_half_op_CI_CI_unitstride_sbrr_dirReg
	.p2align	8
	.type	fft_rtc_back_len680_factors_17_4_10_wgs_204_tpt_68_halfLds_half_op_CI_CI_unitstride_sbrr_dirReg,@function
fft_rtc_back_len680_factors_17_4_10_wgs_204_tpt_68_halfLds_half_op_CI_CI_unitstride_sbrr_dirReg: ; @fft_rtc_back_len680_factors_17_4_10_wgs_204_tpt_68_halfLds_half_op_CI_CI_unitstride_sbrr_dirReg
; %bb.0:
	s_load_b128 s[8:11], s[0:1], 0x0
	v_mul_u32_u24_e32 v1, 0x3c4, v0
	s_clause 0x1
	s_load_b128 s[4:7], s[0:1], 0x58
	s_load_b128 s[12:15], s[0:1], 0x18
	v_mov_b32_e32 v5, 0
	v_mov_b32_e32 v3, 0
	;; [unrolled: 1-line block ×3, first 2 shown]
	v_lshrrev_b32_e32 v1, 16, v1
	s_delay_alu instid0(VALU_DEP_2) | instskip(NEXT) | instid1(VALU_DEP_2)
	v_dual_mov_b32 v12, v4 :: v_dual_mov_b32 v11, v3
	v_mad_co_u64_u32 v[1:2], null, ttmp9, 3, v[1:2]
	v_mov_b32_e32 v2, v5
	s_delay_alu instid0(VALU_DEP_1) | instskip(SKIP_2) | instid1(VALU_DEP_1)
	v_dual_mov_b32 v14, v2 :: v_dual_mov_b32 v13, v1
	s_wait_kmcnt 0x0
	v_cmp_lt_u64_e64 s2, s[10:11], 2
	s_and_b32 vcc_lo, exec_lo, s2
	s_cbranch_vccnz .LBB0_8
; %bb.1:
	s_load_b64 s[2:3], s[0:1], 0x10
	v_dual_mov_b32 v3, 0 :: v_dual_mov_b32 v8, v2
	v_dual_mov_b32 v4, 0 :: v_dual_mov_b32 v7, v1
	s_add_nc_u64 s[16:17], s[14:15], 8
	s_add_nc_u64 s[18:19], s[12:13], 8
	s_mov_b64 s[20:21], 1
	s_delay_alu instid0(VALU_DEP_1)
	v_dual_mov_b32 v12, v4 :: v_dual_mov_b32 v11, v3
	s_wait_kmcnt 0x0
	s_add_nc_u64 s[22:23], s[2:3], 8
	s_mov_b32 s3, 0
.LBB0_2:                                ; =>This Inner Loop Header: Depth=1
	s_load_b64 s[24:25], s[22:23], 0x0
                                        ; implicit-def: $vgpr13_vgpr14
	s_mov_b32 s2, exec_lo
	s_wait_kmcnt 0x0
	v_or_b32_e32 v6, s25, v8
	s_delay_alu instid0(VALU_DEP_1)
	v_cmpx_ne_u64_e32 0, v[5:6]
	s_wait_alu 0xfffe
	s_xor_b32 s26, exec_lo, s2
	s_cbranch_execz .LBB0_4
; %bb.3:                                ;   in Loop: Header=BB0_2 Depth=1
	s_cvt_f32_u32 s2, s24
	s_cvt_f32_u32 s27, s25
	s_sub_nc_u64 s[30:31], 0, s[24:25]
	s_wait_alu 0xfffe
	s_delay_alu instid0(SALU_CYCLE_1) | instskip(SKIP_1) | instid1(SALU_CYCLE_2)
	s_fmamk_f32 s2, s27, 0x4f800000, s2
	s_wait_alu 0xfffe
	v_s_rcp_f32 s2, s2
	s_delay_alu instid0(TRANS32_DEP_1) | instskip(SKIP_1) | instid1(SALU_CYCLE_2)
	s_mul_f32 s2, s2, 0x5f7ffffc
	s_wait_alu 0xfffe
	s_mul_f32 s27, s2, 0x2f800000
	s_wait_alu 0xfffe
	s_delay_alu instid0(SALU_CYCLE_2) | instskip(SKIP_1) | instid1(SALU_CYCLE_2)
	s_trunc_f32 s27, s27
	s_wait_alu 0xfffe
	s_fmamk_f32 s2, s27, 0xcf800000, s2
	s_cvt_u32_f32 s29, s27
	s_wait_alu 0xfffe
	s_delay_alu instid0(SALU_CYCLE_1) | instskip(SKIP_1) | instid1(SALU_CYCLE_2)
	s_cvt_u32_f32 s28, s2
	s_wait_alu 0xfffe
	s_mul_u64 s[34:35], s[30:31], s[28:29]
	s_wait_alu 0xfffe
	s_mul_hi_u32 s37, s28, s35
	s_mul_i32 s36, s28, s35
	s_mul_hi_u32 s2, s28, s34
	s_mul_i32 s33, s29, s34
	s_wait_alu 0xfffe
	s_add_nc_u64 s[36:37], s[2:3], s[36:37]
	s_mul_hi_u32 s27, s29, s34
	s_mul_hi_u32 s38, s29, s35
	s_add_co_u32 s2, s36, s33
	s_wait_alu 0xfffe
	s_add_co_ci_u32 s2, s37, s27
	s_mul_i32 s34, s29, s35
	s_add_co_ci_u32 s35, s38, 0
	s_wait_alu 0xfffe
	s_add_nc_u64 s[34:35], s[2:3], s[34:35]
	s_wait_alu 0xfffe
	v_add_co_u32 v2, s2, s28, s34
	s_delay_alu instid0(VALU_DEP_1) | instskip(SKIP_1) | instid1(VALU_DEP_1)
	s_cmp_lg_u32 s2, 0
	s_add_co_ci_u32 s29, s29, s35
	v_readfirstlane_b32 s28, v2
	s_wait_alu 0xfffe
	s_delay_alu instid0(VALU_DEP_1)
	s_mul_u64 s[30:31], s[30:31], s[28:29]
	s_wait_alu 0xfffe
	s_mul_hi_u32 s35, s28, s31
	s_mul_i32 s34, s28, s31
	s_mul_hi_u32 s2, s28, s30
	s_mul_i32 s33, s29, s30
	s_wait_alu 0xfffe
	s_add_nc_u64 s[34:35], s[2:3], s[34:35]
	s_mul_hi_u32 s27, s29, s30
	s_mul_hi_u32 s28, s29, s31
	s_wait_alu 0xfffe
	s_add_co_u32 s2, s34, s33
	s_add_co_ci_u32 s2, s35, s27
	s_mul_i32 s30, s29, s31
	s_add_co_ci_u32 s31, s28, 0
	s_wait_alu 0xfffe
	s_add_nc_u64 s[30:31], s[2:3], s[30:31]
	s_wait_alu 0xfffe
	v_add_co_u32 v2, s2, v2, s30
	s_delay_alu instid0(VALU_DEP_1) | instskip(SKIP_1) | instid1(VALU_DEP_1)
	s_cmp_lg_u32 s2, 0
	s_add_co_ci_u32 s2, s29, s31
	v_mul_hi_u32 v6, v7, v2
	s_wait_alu 0xfffe
	v_mad_co_u64_u32 v[9:10], null, v7, s2, 0
	v_mad_co_u64_u32 v[13:14], null, v8, v2, 0
	;; [unrolled: 1-line block ×3, first 2 shown]
	s_delay_alu instid0(VALU_DEP_3) | instskip(SKIP_1) | instid1(VALU_DEP_4)
	v_add_co_u32 v2, vcc_lo, v6, v9
	s_wait_alu 0xfffd
	v_add_co_ci_u32_e32 v6, vcc_lo, 0, v10, vcc_lo
	s_delay_alu instid0(VALU_DEP_2) | instskip(SKIP_1) | instid1(VALU_DEP_2)
	v_add_co_u32 v2, vcc_lo, v2, v13
	s_wait_alu 0xfffd
	v_add_co_ci_u32_e32 v2, vcc_lo, v6, v14, vcc_lo
	s_wait_alu 0xfffd
	v_add_co_ci_u32_e32 v6, vcc_lo, 0, v16, vcc_lo
	s_delay_alu instid0(VALU_DEP_2) | instskip(SKIP_1) | instid1(VALU_DEP_2)
	v_add_co_u32 v2, vcc_lo, v2, v15
	s_wait_alu 0xfffd
	v_add_co_ci_u32_e32 v6, vcc_lo, 0, v6, vcc_lo
	s_delay_alu instid0(VALU_DEP_2) | instskip(SKIP_1) | instid1(VALU_DEP_3)
	v_mul_lo_u32 v13, s25, v2
	v_mad_co_u64_u32 v[9:10], null, s24, v2, 0
	v_mul_lo_u32 v14, s24, v6
	s_delay_alu instid0(VALU_DEP_2) | instskip(NEXT) | instid1(VALU_DEP_2)
	v_sub_co_u32 v9, vcc_lo, v7, v9
	v_add3_u32 v10, v10, v14, v13
	s_delay_alu instid0(VALU_DEP_1) | instskip(SKIP_1) | instid1(VALU_DEP_1)
	v_sub_nc_u32_e32 v13, v8, v10
	s_wait_alu 0xfffd
	v_subrev_co_ci_u32_e64 v13, s2, s25, v13, vcc_lo
	v_add_co_u32 v14, s2, v2, 2
	s_wait_alu 0xf1ff
	v_add_co_ci_u32_e64 v15, s2, 0, v6, s2
	v_sub_co_u32 v16, s2, v9, s24
	v_sub_co_ci_u32_e32 v10, vcc_lo, v8, v10, vcc_lo
	s_wait_alu 0xf1ff
	v_subrev_co_ci_u32_e64 v13, s2, 0, v13, s2
	s_delay_alu instid0(VALU_DEP_3) | instskip(NEXT) | instid1(VALU_DEP_3)
	v_cmp_le_u32_e32 vcc_lo, s24, v16
	v_cmp_eq_u32_e64 s2, s25, v10
	s_wait_alu 0xfffd
	v_cndmask_b32_e64 v16, 0, -1, vcc_lo
	v_cmp_le_u32_e32 vcc_lo, s25, v13
	s_wait_alu 0xfffd
	v_cndmask_b32_e64 v17, 0, -1, vcc_lo
	v_cmp_le_u32_e32 vcc_lo, s24, v9
	;; [unrolled: 3-line block ×3, first 2 shown]
	s_wait_alu 0xfffd
	v_cndmask_b32_e64 v18, 0, -1, vcc_lo
	v_cmp_eq_u32_e32 vcc_lo, s25, v13
	s_wait_alu 0xf1ff
	s_delay_alu instid0(VALU_DEP_2)
	v_cndmask_b32_e64 v9, v18, v9, s2
	s_wait_alu 0xfffd
	v_cndmask_b32_e32 v13, v17, v16, vcc_lo
	v_add_co_u32 v16, vcc_lo, v2, 1
	s_wait_alu 0xfffd
	v_add_co_ci_u32_e32 v17, vcc_lo, 0, v6, vcc_lo
	s_delay_alu instid0(VALU_DEP_3) | instskip(SKIP_1) | instid1(VALU_DEP_2)
	v_cmp_ne_u32_e32 vcc_lo, 0, v13
	s_wait_alu 0xfffd
	v_dual_cndmask_b32 v10, v17, v15 :: v_dual_cndmask_b32 v13, v16, v14
	v_cmp_ne_u32_e32 vcc_lo, 0, v9
	s_wait_alu 0xfffd
	s_delay_alu instid0(VALU_DEP_2) | instskip(NEXT) | instid1(VALU_DEP_3)
	v_cndmask_b32_e32 v14, v6, v10, vcc_lo
	v_cndmask_b32_e32 v13, v2, v13, vcc_lo
.LBB0_4:                                ;   in Loop: Header=BB0_2 Depth=1
	s_wait_alu 0xfffe
	s_and_not1_saveexec_b32 s2, s26
	s_cbranch_execz .LBB0_6
; %bb.5:                                ;   in Loop: Header=BB0_2 Depth=1
	v_cvt_f32_u32_e32 v2, s24
	s_sub_co_i32 s26, 0, s24
	v_mov_b32_e32 v14, v5
	s_delay_alu instid0(VALU_DEP_2) | instskip(NEXT) | instid1(TRANS32_DEP_1)
	v_rcp_iflag_f32_e32 v2, v2
	v_mul_f32_e32 v2, 0x4f7ffffe, v2
	s_delay_alu instid0(VALU_DEP_1) | instskip(SKIP_1) | instid1(VALU_DEP_1)
	v_cvt_u32_f32_e32 v2, v2
	s_wait_alu 0xfffe
	v_mul_lo_u32 v6, s26, v2
	s_delay_alu instid0(VALU_DEP_1) | instskip(NEXT) | instid1(VALU_DEP_1)
	v_mul_hi_u32 v6, v2, v6
	v_add_nc_u32_e32 v2, v2, v6
	s_delay_alu instid0(VALU_DEP_1) | instskip(NEXT) | instid1(VALU_DEP_1)
	v_mul_hi_u32 v2, v7, v2
	v_mul_lo_u32 v6, v2, s24
	v_add_nc_u32_e32 v9, 1, v2
	s_delay_alu instid0(VALU_DEP_2) | instskip(NEXT) | instid1(VALU_DEP_1)
	v_sub_nc_u32_e32 v6, v7, v6
	v_subrev_nc_u32_e32 v10, s24, v6
	v_cmp_le_u32_e32 vcc_lo, s24, v6
	s_wait_alu 0xfffd
	s_delay_alu instid0(VALU_DEP_2) | instskip(SKIP_1) | instid1(VALU_DEP_2)
	v_cndmask_b32_e32 v6, v6, v10, vcc_lo
	v_cndmask_b32_e32 v2, v2, v9, vcc_lo
	v_cmp_le_u32_e32 vcc_lo, s24, v6
	s_delay_alu instid0(VALU_DEP_2) | instskip(SKIP_1) | instid1(VALU_DEP_1)
	v_add_nc_u32_e32 v9, 1, v2
	s_wait_alu 0xfffd
	v_cndmask_b32_e32 v13, v2, v9, vcc_lo
.LBB0_6:                                ;   in Loop: Header=BB0_2 Depth=1
	s_wait_alu 0xfffe
	s_or_b32 exec_lo, exec_lo, s2
	v_mul_lo_u32 v2, v14, s24
	s_delay_alu instid0(VALU_DEP_2)
	v_mul_lo_u32 v6, v13, s25
	s_load_b64 s[26:27], s[18:19], 0x0
	v_mad_co_u64_u32 v[9:10], null, v13, s24, 0
	s_load_b64 s[24:25], s[16:17], 0x0
	s_add_nc_u64 s[20:21], s[20:21], 1
	s_add_nc_u64 s[16:17], s[16:17], 8
	s_wait_alu 0xfffe
	v_cmp_ge_u64_e64 s2, s[20:21], s[10:11]
	s_add_nc_u64 s[18:19], s[18:19], 8
	s_add_nc_u64 s[22:23], s[22:23], 8
	v_add3_u32 v2, v10, v6, v2
	v_sub_co_u32 v6, vcc_lo, v7, v9
	s_wait_alu 0xfffd
	s_delay_alu instid0(VALU_DEP_2) | instskip(SKIP_2) | instid1(VALU_DEP_1)
	v_sub_co_ci_u32_e32 v2, vcc_lo, v8, v2, vcc_lo
	s_and_b32 vcc_lo, exec_lo, s2
	s_wait_kmcnt 0x0
	v_mul_lo_u32 v7, s26, v2
	v_mul_lo_u32 v8, s27, v6
	v_mad_co_u64_u32 v[3:4], null, s26, v6, v[3:4]
	v_mul_lo_u32 v2, s24, v2
	v_mul_lo_u32 v9, s25, v6
	v_mad_co_u64_u32 v[11:12], null, s24, v6, v[11:12]
	s_delay_alu instid0(VALU_DEP_4) | instskip(NEXT) | instid1(VALU_DEP_2)
	v_add3_u32 v4, v8, v4, v7
	v_add3_u32 v12, v9, v12, v2
	s_wait_alu 0xfffe
	s_cbranch_vccnz .LBB0_8
; %bb.7:                                ;   in Loop: Header=BB0_2 Depth=1
	v_dual_mov_b32 v7, v13 :: v_dual_mov_b32 v8, v14
	s_branch .LBB0_2
.LBB0_8:
	s_load_b64 s[0:1], s[0:1], 0x28
	s_lshl_b64 s[10:11], s[10:11], 3
	v_mul_hi_u32 v2, 0x3c3c3c4, v0
	s_wait_alu 0xfffe
	s_add_nc_u64 s[2:3], s[14:15], s[10:11]
	v_mov_b32_e32 v16, 0
	s_load_b64 s[2:3], s[2:3], 0x0
                                        ; implicit-def: $vgpr31
                                        ; implicit-def: $vgpr42
                                        ; implicit-def: $vgpr30
                                        ; implicit-def: $vgpr41
                                        ; implicit-def: $vgpr29
                                        ; implicit-def: $vgpr40
                                        ; implicit-def: $vgpr28
                                        ; implicit-def: $vgpr39
                                        ; implicit-def: $vgpr27
                                        ; implicit-def: $vgpr38
                                        ; implicit-def: $vgpr25
                                        ; implicit-def: $vgpr35
                                        ; implicit-def: $vgpr24
                                        ; implicit-def: $vgpr34
                                        ; implicit-def: $vgpr23
                                        ; implicit-def: $vgpr32
                                        ; implicit-def: $vgpr22
                                        ; implicit-def: $vgpr33
                                        ; implicit-def: $vgpr10
                                        ; implicit-def: $vgpr36
                                        ; implicit-def: $vgpr9
                                        ; implicit-def: $vgpr37
                                        ; implicit-def: $vgpr49
                                        ; implicit-def: $vgpr47
                                        ; implicit-def: $vgpr6
                                        ; implicit-def: $vgpr45
                                        ; implicit-def: $vgpr7
                                        ; implicit-def: $vgpr44
                                        ; implicit-def: $vgpr8
                                        ; implicit-def: $vgpr43
	v_mov_b32_e32 v21, 0
	s_delay_alu instid0(VALU_DEP_3) | instskip(SKIP_1) | instid1(VALU_DEP_2)
	v_mul_u32_u24_e32 v5, 0x44, v2
	v_mov_b32_e32 v2, 0
	v_sub_nc_u32_e32 v15, v0, v5
                                        ; implicit-def: $vgpr0
                                        ; implicit-def: $vgpr5
	s_wait_kmcnt 0x0
	v_cmp_gt_u64_e32 vcc_lo, s[0:1], v[13:14]
	s_and_saveexec_b32 s1, vcc_lo
	s_cbranch_execz .LBB0_12
; %bb.9:
	v_cmp_gt_u32_e64 s0, 40, v15
	v_dual_mov_b32 v21, 0 :: v_dual_mov_b32 v2, 0
                                        ; implicit-def: $vgpr43
                                        ; implicit-def: $vgpr8
                                        ; implicit-def: $vgpr44
                                        ; implicit-def: $vgpr7
                                        ; implicit-def: $vgpr45
                                        ; implicit-def: $vgpr6
                                        ; implicit-def: $vgpr47
                                        ; implicit-def: $vgpr5
                                        ; implicit-def: $vgpr49
                                        ; implicit-def: $vgpr0
                                        ; implicit-def: $vgpr37
                                        ; implicit-def: $vgpr9
                                        ; implicit-def: $vgpr36
                                        ; implicit-def: $vgpr10
                                        ; implicit-def: $vgpr33
                                        ; implicit-def: $vgpr22
                                        ; implicit-def: $vgpr32
                                        ; implicit-def: $vgpr23
                                        ; implicit-def: $vgpr34
                                        ; implicit-def: $vgpr24
                                        ; implicit-def: $vgpr35
                                        ; implicit-def: $vgpr25
                                        ; implicit-def: $vgpr38
                                        ; implicit-def: $vgpr27
                                        ; implicit-def: $vgpr39
                                        ; implicit-def: $vgpr28
                                        ; implicit-def: $vgpr40
                                        ; implicit-def: $vgpr29
                                        ; implicit-def: $vgpr41
                                        ; implicit-def: $vgpr30
                                        ; implicit-def: $vgpr42
                                        ; implicit-def: $vgpr31
	s_delay_alu instid0(VALU_DEP_2)
	s_and_saveexec_b32 s14, s0
	s_cbranch_execz .LBB0_11
; %bb.10:
	s_add_nc_u64 s[10:11], s[12:13], s[10:11]
	v_mov_b32_e32 v16, 0
	s_load_b64 s[10:11], s[10:11], 0x0
	s_wait_kmcnt 0x0
	v_mul_lo_u32 v0, s11, v13
	v_mul_lo_u32 v2, s10, v14
	v_mad_co_u64_u32 v[5:6], null, s10, v13, 0
	s_delay_alu instid0(VALU_DEP_1) | instskip(SKIP_1) | instid1(VALU_DEP_2)
	v_add3_u32 v6, v6, v2, v0
	v_lshlrev_b64_e32 v[2:3], 2, v[3:4]
	v_lshlrev_b64_e32 v[5:6], 2, v[5:6]
	s_delay_alu instid0(VALU_DEP_1) | instskip(SKIP_1) | instid1(VALU_DEP_2)
	v_add_co_u32 v0, s0, s4, v5
	s_wait_alu 0xf1ff
	v_add_co_ci_u32_e64 v6, s0, s5, v6, s0
	v_lshlrev_b64_e32 v[4:5], 2, v[15:16]
	s_delay_alu instid0(VALU_DEP_3) | instskip(SKIP_1) | instid1(VALU_DEP_3)
	v_add_co_u32 v0, s0, v0, v2
	s_wait_alu 0xf1ff
	v_add_co_ci_u32_e64 v3, s0, v6, v3, s0
	s_delay_alu instid0(VALU_DEP_2) | instskip(SKIP_1) | instid1(VALU_DEP_2)
	v_add_co_u32 v2, s0, v0, v4
	s_wait_alu 0xf1ff
	v_add_co_ci_u32_e64 v3, s0, v3, v5, s0
	s_clause 0x10
	global_load_b32 v21, v[2:3], off
	global_load_b32 v42, v[2:3], off offset:160
	global_load_b32 v41, v[2:3], off offset:320
	;; [unrolled: 1-line block ×16, first 2 shown]
	s_wait_loadcnt 0x10
	v_lshrrev_b32_e32 v2, 16, v21
	s_wait_loadcnt 0xf
	v_lshrrev_b32_e32 v31, 16, v42
	;; [unrolled: 2-line block ×17, first 2 shown]
.LBB0_11:
	s_or_b32 exec_lo, exec_lo, s14
	v_mov_b32_e32 v16, v15
.LBB0_12:
	s_wait_alu 0xfffe
	s_or_b32 exec_lo, exec_lo, s1
	v_sub_f16_e32 v52, v31, v0
	v_add_f16_e32 v53, v42, v49
	v_sub_f16_e32 v55, v30, v5
	v_add_f16_e32 v54, v41, v47
	v_sub_f16_e32 v57, v29, v6
	v_mul_f16_e32 v51, 0xba62, v52
	v_mul_hi_u32 v3, 0xaaaaaaab, v1
	v_mul_f16_e32 v50, 0x3bb2, v55
	v_add_f16_e32 v56, v40, v45
	v_sub_f16_e32 v59, v28, v7
	v_fma_f16 v4, v53, 0xb8d2, -v51
	v_mul_f16_e32 v48, 0xb5c8, v57
	v_fma_f16 v17, v54, 0xb461, -v50
	v_add_f16_e32 v58, v39, v44
	v_lshrrev_b32_e32 v19, 1, v3
	v_add_f16_e32 v18, v21, v4
	v_mul_f16_e32 v4, 0xb836, v59
	v_fma_f16 v20, v56, 0x3b76, -v48
	v_sub_f16_e32 v61, v27, v8
	v_lshl_add_u32 v19, v19, 1, v19
	v_add_f16_e32 v17, v18, v17
	v_pk_mul_f16 v18, 0xb836b1e1, v52 op_sel_hi:[1,0]
	v_fma_f16 v26, v58, 0xbacd, -v4
	v_add_f16_e32 v60, v38, v43
	v_mul_f16_e32 v3, 0x3bf7, v61
	v_add_f16_e32 v17, v17, v20
	v_sub_f16_e32 v64, v25, v9
	v_pk_fma_f16 v68, 0xbacdbbdd, v53, v18 op_sel_hi:[1,0,1]
	v_sub_nc_u32_e32 v19, v1, v19
	v_fma_f16 v20, v60, 0x2de8, -v3
	v_add_f16_e32 v1, v17, v26
	v_pk_fma_f16 v17, 0xbacdbbdd, v53, v18 op_sel_hi:[1,0,1] neg_lo:[0,0,1] neg_hi:[0,0,1]
	v_pk_mul_f16 v18, 0x3b2935c8, v55 op_sel_hi:[1,0]
	v_add_f16_e32 v66, v35, v37
	v_mul_f16_e32 v46, 0xb964, v64
	v_add_f16_e32 v26, v21, v68
	v_pk_add_f16 v17, v21, v17 op_sel_hi:[0,1]
	v_pk_fma_f16 v69, 0x37223b76, v54, v18 op_sel_hi:[1,0,1]
	v_pk_fma_f16 v18, 0x37223b76, v54, v18 op_sel_hi:[1,0,1] neg_lo:[0,0,1] neg_hi:[0,0,1]
	v_pk_mul_f16 v62, 0xbbf7b836, v57 op_sel_hi:[1,0]
	v_add_f16_e32 v1, v1, v20
	v_fma_f16 v20, v66, 0x39e9, -v46
	v_add_f16_e32 v26, v26, v69
	v_pk_add_f16 v17, v17, v18
	v_pk_fma_f16 v70, 0x2de8bacd, v56, v62 op_sel_hi:[1,0,1]
	v_pk_fma_f16 v18, 0x2de8bacd, v56, v62 op_sel_hi:[1,0,1] neg_lo:[0,0,1] neg_hi:[0,0,1]
	v_pk_mul_f16 v63, 0x3a623964, v59 op_sel_hi:[1,0]
	v_add_f16_e32 v20, v20, v1
	v_sub_f16_e32 v62, v24, v10
	v_add_f16_e32 v1, v26, v70
	v_pk_add_f16 v17, v17, v18
	v_pk_fma_f16 v71, 0xb8d239e9, v58, v63 op_sel_hi:[1,0,1]
	v_pk_fma_f16 v18, 0xb8d239e9, v58, v63 op_sel_hi:[1,0,1] neg_lo:[0,0,1] neg_hi:[0,0,1]
	v_pk_mul_f16 v63, 0xb5c8ba62, v61 op_sel_hi:[1,0]
	v_pk_mul_f16 v65, 0xb1e13b29, v64 op_sel_hi:[1,0]
	v_add_f16_e32 v67, v34, v36
	v_add_f16_e32 v1, v1, v71
	v_pk_add_f16 v17, v17, v18
	v_pk_fma_f16 v72, 0x3b76b8d2, v60, v63 op_sel_hi:[1,0,1]
	v_pk_fma_f16 v18, 0x3b76b8d2, v60, v63 op_sel_hi:[1,0,1] neg_lo:[0,0,1] neg_hi:[0,0,1]
	v_mul_f16_e32 v26, 0xb1e1, v62
	v_sub_f16_e32 v63, v23, v22
	v_pk_fma_f16 v73, 0xbbdd3722, v66, v65 op_sel_hi:[1,0,1]
	v_add_f16_e32 v74, v1, v72
	v_pk_add_f16 v17, v17, v18
	v_pk_fma_f16 v18, 0xbbdd3722, v66, v65 op_sel_hi:[1,0,1] neg_lo:[0,0,1] neg_hi:[0,0,1]
	v_pk_mul_f16 v76, 0x3964bbb2, v62 op_sel_hi:[1,0]
	v_add_f16_e32 v65, v32, v33
	v_fma_f16 v75, v67, 0xbbdd, -v26
	v_mul_f16_e32 v1, 0x3b29, v63
	v_add_f16_e32 v77, v73, v74
	v_pk_add_f16 v17, v18, v17
	v_pk_fma_f16 v74, 0x39e9b461, v67, v76 op_sel_hi:[1,0,1]
	v_pk_fma_f16 v18, 0x39e9b461, v67, v76 op_sel_hi:[1,0,1] neg_lo:[0,0,1] neg_hi:[0,0,1]
	v_pk_mul_f16 v76, 0xb4612de8, v65 op_sel_hi:[1,0]
	v_add_f16_e32 v20, v75, v20
	v_fma_f16 v78, v65, 0x3722, -v1
	v_add_f16_e32 v77, v74, v77
	v_pk_add_f16 v17, v18, v17
	v_pk_fma_f16 v75, 0xbbb23bf7, v63, v76 op_sel_hi:[1,0,1]
	v_pk_fma_f16 v76, 0xbbb23bf7, v63, v76 op_sel_hi:[1,0,1] neg_lo:[0,1,0] neg_hi:[0,1,0]
	v_mul_u32_u24_e32 v79, 0x2a8, v19
	v_add_f16_e32 v19, v78, v20
	v_cmp_gt_u32_e64 s1, 40, v15
	v_add_f16_e32 v18, v75, v77
	v_pk_add_f16 v20, v76, v17
	v_lshlrev_b32_e32 v17, 1, v79
	s_delay_alu instid0(VALU_DEP_4)
	s_and_saveexec_b32 s0, s1
	s_cbranch_execz .LBB0_14
; %bb.13:
	v_lshrrev_b32_e32 v68, 16, v68
	v_lshrrev_b32_e32 v69, 16, v69
	;; [unrolled: 1-line block ×5, first 2 shown]
	v_add_f16_e32 v68, v21, v68
	v_lshrrev_b32_e32 v73, 16, v73
	v_lshrrev_b32_e32 v74, 16, v74
	v_mul_f16_e32 v76, 0xb8d2, v53
	v_pack_b32_f16 v83, v53, v53
	v_add_f16_e32 v68, v68, v69
	v_lshrrev_b32_e32 v75, 16, v75
	v_mul_f16_e32 v53, 0xb461, v53
	v_mul_f16_e32 v77, 0xb461, v54
	v_pack_b32_f16 v85, v54, v54
	v_add_f16_e32 v68, v68, v70
	v_pack_b32_f16 v70, v52, v52
	v_mul_f16_e32 v52, 0xbbb2, v52
	v_mul_f16_e32 v54, 0xbacd, v54
	v_perm_b32 v76, v76, v53, 0x5040100
	v_add_f16_e32 v68, v68, v71
	v_pack_b32_f16 v71, v55, v55
	v_mul_f16_e32 v55, 0x3836, v55
	v_perm_b32 v51, v51, v52, 0x5040100
	v_add_f16_e32 v99, v21, v42
	v_add_f16_e32 v68, v68, v72
	v_mul_f16_e32 v78, 0x3b76, v56
	v_perm_b32 v84, v21, v21, 0x5040100
	v_pack_b32_f16 v86, v56, v56
	v_pack_b32_f16 v87, v57, v57
	v_add_f16_e32 v68, v73, v68
	v_mul_f16_e32 v56, 0x39e9, v56
	v_mul_f16_e32 v57, 0x3964, v57
	v_pk_mul_f16 v97, 0x2de839e9, v85
	v_pk_add_f16 v51, v51, v76
	v_add_f16_e32 v68, v74, v68
	v_perm_b32 v50, v50, v55, 0x5040100
	v_perm_b32 v77, v77, v54, 0x5040100
	v_add_f16_e32 v99, v99, v41
	v_mul_f16_e32 v79, 0xbacd, v58
	v_add_f16_e32 v68, v75, v68
	v_pk_mul_f16 v75, 0x39e93b76, v83
	v_pack_b32_f16 v72, v58, v58
	v_pack_b32_f16 v88, v59, v59
	v_mul_f16_e32 v58, 0x3722, v58
	v_mul_f16_e32 v59, 0xbb29, v59
	v_fmamk_f16 v96, v70, 0x35c8, v75
	v_pk_fma_f16 v75, 0xb964b5c8, v70, v75
	v_pk_mul_f16 v101, 0xb8d23722, v86
	v_pk_add_f16 v51, v84, v51
	v_pk_add_f16 v50, v50, v77
	v_add_f16_e32 v21, v21, v96
	v_fmamk_f16 v96, v71, 0x3964, v97
	v_pk_add_f16 v75, v84, v75
	v_pk_fma_f16 v97, 0xbbf7b964, v71, v97
	v_perm_b32 v48, v48, v57, 0x5040100
	v_perm_b32 v77, v78, v56, 0x5040100
	v_add_f16_e32 v99, v99, v40
	v_mul_f16_e32 v80, 0x2de8, v60
	v_pack_b32_f16 v89, v60, v60
	v_pack_b32_f16 v73, v61, v61
	v_mul_f16_e32 v60, 0xbbdd, v60
	v_mul_f16_e32 v61, 0xb1e1, v61
	v_add_f16_e32 v21, v21, v96
	v_fmamk_f16 v96, v87, 0x3b29, v101
	v_pk_mul_f16 v104, 0xbbdd2de8, v72
	v_pk_add_f16 v75, v75, v97
	v_pk_fma_f16 v97, 0xba62bb29, v87, v101
	v_pk_add_f16 v50, v51, v50
	v_pk_add_f16 v48, v48, v77
	v_perm_b32 v4, v4, v59, 0x5040100
	v_perm_b32 v79, v79, v58, 0x5040100
	v_add_f16_e32 v99, v99, v39
	v_mul_f16_e32 v81, 0x39e9, v66
	v_pack_b32_f16 v90, v66, v66
	v_pack_b32_f16 v91, v64, v64
	v_mul_f16_e32 v66, 0x2de8, v66
	v_mul_f16_e32 v64, 0x3bf7, v64
	v_pk_mul_f16 v95, 0x2de83722, v83
	v_add_f16_e32 v21, v21, v96
	v_fmamk_f16 v96, v88, 0x3bf7, v104
	v_pk_mul_f16 v105, 0xbacdb461, v89
	v_pk_add_f16 v75, v75, v97
	v_pk_fma_f16 v97, 0xb1e1bbf7, v88, v104
	v_pk_add_f16 v48, v50, v48
	v_pk_add_f16 v4, v4, v79
	v_perm_b32 v3, v3, v61, 0x5040100
	v_perm_b32 v80, v80, v60, 0x5040100
	v_add_f16_e32 v99, v99, v38
	v_mul_f16_e32 v69, 0xbbdd, v67
	v_pack_b32_f16 v74, v67, v67
	v_pack_b32_f16 v92, v62, v62
	v_mul_f16_e32 v67, 0x3b76, v67
	v_mul_f16_e32 v62, 0xb5c8, v62
	v_pk_mul_f16 v98, 0xbbf7bb29, v70
	v_pk_mul_f16 v100, 0xbbddb8d2, v85
	v_add_f16_e32 v21, v21, v96
	v_fmamk_f16 v96, v73, 0x3bb2, v105
	v_pk_mul_f16 v101, 0xb461b8d2, v90
	v_pk_add_f16 v75, v75, v97
	v_pk_fma_f16 v97, 0x3836bbb2, v73, v105
	v_pk_fma_f16 v105, 0xbbf7bb29, v70, v95
	v_pk_add_f16 v4, v48, v4
	v_pk_add_f16 v3, v3, v80
	v_perm_b32 v46, v46, v64, 0x5040100
	v_perm_b32 v81, v81, v66, 0x5040100
	v_add_f16_e32 v99, v99, v35
	v_pk_mul_f16 v102, 0xb1e1ba62, v71
	v_add_f16_e32 v21, v21, v96
	v_fmamk_f16 v96, v91, 0x3a62, v101
	v_pk_mul_f16 v104, 0x3722bacd, v74
	v_pk_add_f16 v75, v75, v97
	v_pk_fma_f16 v97, 0x3bb2ba62, v91, v101
	v_pk_add_f16 v101, v84, v105
	v_pk_fma_f16 v105, 0xb1e1ba62, v71, v100
	v_pk_add_f16 v3, v4, v3
	v_pk_add_f16 v46, v46, v81
	v_bfi_b32 v53, 0xffff, v53, v95
	v_perm_b32 v26, v26, v62, 0x5040100
	v_perm_b32 v69, v69, v67, 0x5040100
	v_bfi_b32 v52, 0xffff, v52, v98
	v_add_f16_e32 v99, v99, v34
	v_pk_mul_f16 v103, 0xb461bbdd, v86
	v_add_f16_e32 v21, v96, v21
	v_fmamk_f16 v96, v92, 0x3836, v104
	v_pk_add_f16 v75, v97, v75
	v_pk_add_f16 v97, v101, v105
	v_pk_mul_f16 v105, 0x3bb231e1, v87
	v_pk_add_f16 v3, v46, v3
	v_pk_add_f16 v26, v26, v69
	v_pk_add_f16 v46, v53, v52 neg_lo:[0,1] neg_hi:[0,1]
	v_bfi_b32 v52, 0xffff, v54, v100
	v_bfi_b32 v53, 0xffff, v55, v102
	v_add_f16_e32 v99, v99, v32
	v_mul_f16_e32 v82, 0x3722, v65
	v_pack_b32_f16 v93, v65, v65
	v_pack_b32_f16 v94, v63, v63
	v_mul_f16_e32 v65, 0xb8d2, v65
	v_mul_f16_e32 v63, 0xba62, v63
	v_add_f16_e32 v21, v96, v21
	v_pk_mul_f16 v96, 0x3b76b461, v72
	v_pk_fma_f16 v101, 0x3bb231e1, v87, v103
	v_pk_mul_f16 v76, 0x35c83bb2, v88
	v_pk_add_f16 v3, v26, v3
	v_pk_add_f16 v26, v84, v46
	v_pk_add_f16 v46, v52, v53 neg_lo:[0,1] neg_hi:[0,1]
	v_bfi_b32 v52, 0xffff, v56, v103
	v_bfi_b32 v53, 0xffff, v57, v105
	v_pk_mul_f16 v56, 0x39643b29, v70
	v_add_f16_e32 v99, v99, v33
	v_pk_add_f16 v97, v97, v101
	v_pk_fma_f16 v101, 0x35c83bb2, v88, v96
	v_perm_b32 v1, v1, v63, 0x5040100
	v_perm_b32 v55, v82, v65, 0x5040100
	v_pk_add_f16 v26, v26, v46
	v_pk_add_f16 v46, v52, v53 neg_lo:[0,1] neg_hi:[0,1]
	v_bfi_b32 v52, 0xffff, v58, v96
	v_bfi_b32 v53, 0xffff, v59, v76
	v_pk_fma_f16 v56, 0x39e93722, v83, v56
	v_pk_mul_f16 v57, 0x3bf73a62, v71
	v_add_f16_e32 v99, v99, v36
	v_pk_add_f16 v97, v97, v101
	v_pk_mul_f16 v101, 0x372239e9, v89
	v_pk_mul_f16 v78, 0xbb293964, v73
	v_pk_add_f16 v1, v1, v55
	v_pk_add_f16 v26, v26, v46
	v_pk_add_f16 v46, v52, v53 neg_lo:[0,1] neg_hi:[0,1]
	v_pk_add_f16 v52, v84, v56
	v_pk_fma_f16 v53, 0x2de8b8d2, v85, v57
	v_pk_mul_f16 v55, 0x3a62b1e1, v87
	v_add_f16_e32 v99, v99, v37
	v_pk_mul_f16 v51, 0xbacd3b76, v90
	v_pk_mul_f16 v77, 0xb836b5c8, v91
	v_bfi_b32 v56, 0xffff, v60, v101
	v_bfi_b32 v57, 0xffff, v61, v78
	v_pk_add_f16 v26, v26, v46
	v_pk_add_f16 v46, v52, v53
	v_pk_fma_f16 v52, 0xb8d2bbdd, v86, v55
	v_pk_mul_f16 v53, 0x31e1bbb2, v88
	v_add_f16_e32 v99, v99, v43
	v_pk_fma_f16 v79, 0xbb293964, v73, v101
	v_pk_fma_f16 v104, 0x3b29b836, v92, v104
	;; [unrolled: 1-line block ×3, first 2 shown]
	v_pk_add_f16 v55, v56, v57 neg_lo:[0,1] neg_hi:[0,1]
	v_bfi_b32 v51, 0xffff, v66, v51
	v_bfi_b32 v56, 0xffff, v64, v77
	v_pk_add_f16 v46, v46, v52
	v_pk_fma_f16 v52, 0xbbddb461, v72, v53
	v_pk_mul_f16 v53, 0xb836b964, v73
	v_pk_mul_f16 v50, 0xb8d22de8, v74
	v_add_f16_e32 v99, v44, v99
	v_pk_add_f16 v79, v97, v79
	v_pk_add_f16 v75, v104, v75
	v_pk_mul_f16 v104, 0x3a62bbf7, v92
	v_pk_add_f16 v1, v1, v3
	v_pk_add_f16 v3, v26, v55
	v_pk_add_f16 v26, v51, v56 neg_lo:[0,1] neg_hi:[0,1]
	v_pk_add_f16 v46, v46, v52
	v_pk_fma_f16 v51, 0xbacd39e9, v89, v53
	v_pk_mul_f16 v52, 0xbbb235c8, v91
	v_pk_mul_f16 v97, 0x39e9bacd, v93
	v_add_f16_e32 v99, v45, v99
	v_pk_mul_f16 v80, 0x3b76bbdd, v93
	v_pk_add_f16 v48, v48, v79
	v_pk_fma_f16 v95, 0x3a62bbf7, v92, v50
	v_pk_mul_f16 v4, 0x3964b836, v94
	v_bfi_b32 v50, 0xffff, v67, v50
	v_bfi_b32 v53, 0xffff, v62, v104
	v_pk_add_f16 v3, v26, v3
	v_pk_add_f16 v26, v46, v51
	v_pk_fma_f16 v46, 0xb4613b76, v90, v52
	v_pk_mul_f16 v51, 0xbb293bf7, v92
	v_add_f16_e32 v99, v47, v99
	v_fmamk_f16 v81, v94, 0x31e1, v80
	v_pk_fma_f16 v80, 0x35c8b1e1, v94, v80
	v_pk_add_f16 v48, v95, v48
	v_pk_fma_f16 v95, 0x3964b836, v94, v97
	v_pk_add_f16 v50, v50, v53 neg_lo:[0,1] neg_hi:[0,1]
	v_bfi_b32 v52, 0xffff, v65, v97
	v_bfi_b32 v4, 0xffff, v63, v4
	v_pk_add_f16 v26, v46, v26
	v_pk_fma_f16 v46, 0x37222de8, v74, v51
	v_pk_mul_f16 v51, 0xb5c83836, v94
	v_mul_u32_u24_e32 v79, 34, v15
	v_add_f16_e32 v99, v49, v99
	v_pk_add_f16 v54, v80, v75
	v_pk_add_f16 v48, v95, v48
	;; [unrolled: 1-line block ×3, first 2 shown]
	v_pk_add_f16 v4, v52, v4 neg_lo:[0,1] neg_hi:[0,1]
	v_pk_add_f16 v26, v46, v26
	v_pk_fma_f16 v46, 0x3b76bacd, v93, v51
	v_add3_u32 v79, 0, v79, v17
	v_alignbit_b32 v53, v68, v1, 16
	v_alignbit_b32 v51, v48, v54, 16
	;; [unrolled: 1-line block ×3, first 2 shown]
	v_pack_b32_f16 v50, v99, v54
	v_pk_add_f16 v56, v4, v3
	v_pk_add_f16 v57, v46, v26
	v_perm_b32 v54, v20, v18, 0x5040100
	v_alignbit_b32 v55, v19, v20, 16
	v_add_f16_e32 v1, v81, v21
	ds_store_b128 v79, v[50:53]
	ds_store_b128 v79, v[54:57] offset:16
	ds_store_b16 v79, v1 offset:32
.LBB0_14:
	s_wait_alu 0xfffe
	s_or_b32 exec_lo, exec_lo, s0
	v_lshlrev_b32_e32 v1, 1, v15
	global_wb scope:SCOPE_SE
	s_wait_dscnt 0x0
	s_barrier_signal -1
	s_barrier_wait -1
	global_inv scope:SCOPE_SE
	v_add_nc_u32_e32 v4, 0, v1
	v_add3_u32 v26, 0, v17, v1
	v_cmp_gt_u32_e64 s0, 34, v15
	s_delay_alu instid0(VALU_DEP_3)
	v_add_nc_u32_e32 v21, v4, v17
	ds_load_u16 v50, v26
	ds_load_u16 v52, v21 offset:1156
	ds_load_u16 v54, v21 offset:1020
	;; [unrolled: 1-line block ×7, first 2 shown]
	s_and_saveexec_b32 s4, s0
	s_cbranch_execz .LBB0_16
; %bb.15:
	ds_load_u16 v20, v21 offset:612
	ds_load_u16 v18, v21 offset:272
	ds_load_u16 v19, v21 offset:1292
	s_wait_dscnt 0x2
	ds_load_u16_d16_hi v20, v21 offset:952
.LBB0_16:
	s_wait_alu 0xfffe
	s_or_b32 exec_lo, exec_lo, s4
	v_sub_f16_e32 v49, v42, v49
	v_add_f16_e32 v56, v31, v0
	v_sub_f16_e32 v47, v41, v47
	v_add_f16_e32 v57, v30, v5
	v_sub_f16_e32 v45, v40, v45
	v_mul_f16_e32 v1, 0xb1e1, v49
	v_sub_f16_e32 v44, v39, v44
	v_mul_f16_e32 v3, 0x35c8, v47
	v_add_f16_e32 v58, v29, v6
	v_sub_f16_e32 v61, v38, v43
	v_fma_f16 v39, v56, 0xbbdd, -v1
	v_fmac_f16_e32 v1, 0xbbdd, v56
	v_mul_f16_e32 v38, 0xb836, v45
	v_fma_f16 v40, v57, 0x3b76, -v3
	v_add_f16_e32 v59, v28, v7
	v_add_f16_e32 v39, v2, v39
	v_fmac_f16_e32 v3, 0x3b76, v57
	v_add_f16_e32 v1, v2, v1
	v_mul_f16_e32 v41, 0x3964, v44
	v_fma_f16 v42, v58, 0xbacd, -v38
	v_add_f16_e32 v39, v39, v40
	v_fmac_f16_e32 v38, 0xbacd, v58
	v_add_f16_e32 v1, v1, v3
	v_add_f16_e32 v63, v27, v8
	v_mul_f16_e32 v3, 0xba62, v61
	v_add_f16_e32 v39, v39, v42
	v_fma_f16 v42, v59, 0x39e9, -v41
	v_pk_mul_f16 v40, 0xba62b836, v49 op_sel_hi:[1,0]
	v_add_f16_e32 v1, v1, v38
	v_fmac_f16_e32 v41, 0x39e9, v59
	v_fma_f16 v38, v63, 0xb8d2, -v3
	v_add_f16_e32 v42, v39, v42
	v_pk_fma_f16 v43, 0xb8d2bacd, v56, v40 op_sel_hi:[1,0,1]
	v_pk_mul_f16 v39, 0x3bb23b29, v47 op_sel_hi:[1,0]
	v_add_f16_e32 v1, v1, v41
	v_sub_f16_e32 v60, v35, v37
	v_add_f16_e32 v41, v42, v38
	v_pk_add_f16 v35, v2, v43 op_sel_hi:[0,1]
	v_pk_fma_f16 v37, 0xb4613722, v57, v39 op_sel_hi:[1,0,1]
	v_pk_mul_f16 v38, 0xb5c8bbf7, v45 op_sel_hi:[1,0]
	v_fmac_f16_e32 v3, 0xb8d2, v63
	v_add_f16_e32 v64, v25, v9
	v_mul_f16_e32 v42, 0x3b29, v60
	v_pk_add_f16 v35, v35, v37
	v_pk_fma_f16 v62, 0x3b762de8, v58, v38 op_sel_hi:[1,0,1]
	v_pk_mul_f16 v37, 0xb8363a62, v44 op_sel_hi:[1,0]
	v_sub_f16_e32 v43, v34, v36
	v_pk_mul_f16 v36, 0x3bf7b5c8, v61 op_sel_hi:[1,0]
	v_add_f16_e32 v1, v1, v3
	v_pk_add_f16 v34, v35, v62
	v_pk_fma_f16 v35, 0xbacdb8d2, v59, v37 op_sel_hi:[1,0,1]
	v_fma_f16 v3, v64, 0x3722, -v42
	v_pk_fma_f16 v66, 0x2de83b76, v63, v36 op_sel_hi:[1,0,1]
	v_fmac_f16_e32 v42, 0x3722, v64
	v_add_f16_e32 v62, v24, v10
	v_pk_add_f16 v34, v34, v35
	v_pk_mul_f16 v35, 0xb964b1e1, v60 op_sel_hi:[1,0]
	v_mul_f16_e32 v65, 0xbbb2, v43
	v_add_f16_e32 v67, v3, v41
	v_pk_mul_f16 v3, 0xb1e13964, v43 op_sel_hi:[1,0]
	v_pk_add_f16 v34, v34, v66
	v_pk_fma_f16 v66, 0x39e9bbdd, v64, v35 op_sel_hi:[1,0,1]
	v_sub_f16_e32 v41, v32, v33
	v_add_f16_e32 v1, v42, v1
	v_fma_f16 v68, v62, 0xb461, -v65
	v_fmac_f16_e32 v65, 0xb461, v62
	v_add_f16_e32 v42, v23, v22
	v_pk_add_f16 v32, v66, v34
	v_pk_fma_f16 v33, 0xbbdd39e9, v62, v3 op_sel_hi:[1,0,1]
	v_pk_mul_f16 v34, 0x3b29bbb2, v41 op_sel_hi:[1,0]
	v_mul_f16_e32 v66, 0x3bf7, v41
	v_add_f16_e32 v67, v68, v67
	v_add_f16_e32 v65, v65, v1
	v_pk_add_f16 v1, v33, v32
	v_pk_fma_f16 v32, 0x3722b461, v42, v34 op_sel_hi:[1,0,1]
	v_fma_f16 v33, v42, 0x2de8, -v66
	v_fmac_f16_e32 v66, 0x2de8, v42
	global_wb scope:SCOPE_SE
	s_wait_dscnt 0x0
	s_barrier_signal -1
	v_pk_add_f16 v1, v32, v1
	v_add_f16_e32 v32, v33, v67
	v_add_f16_e32 v33, v66, v65
	s_barrier_wait -1
	global_inv scope:SCOPE_SE
	s_and_saveexec_b32 s4, s1
	s_cbranch_execz .LBB0_18
; %bb.17:
	v_add_f16_e32 v31, v2, v31
	v_pack_b32_f16 v66, v49, v49
	v_pack_b32_f16 v65, v56, v56
	v_perm_b32 v67, v2, v2, 0x5040100
	v_pack_b32_f16 v68, v57, v57
	v_add_f16_e32 v30, v31, v30
	v_pack_b32_f16 v31, v47, v47
	v_pack_b32_f16 v70, v45, v45
	;; [unrolled: 1-line block ×3, first 2 shown]
	v_pk_mul_f16 v81, 0x2de83b76, v63 op_sel_hi:[1,0]
	v_add_f16_e32 v29, v30, v29
	v_pack_b32_f16 v30, v44, v44
	v_pack_b32_f16 v69, v58, v58
	;; [unrolled: 1-line block ×4, first 2 shown]
	v_add_f16_e32 v28, v29, v28
	v_pack_b32_f16 v74, v64, v64
	v_pk_mul_f16 v80, 0x3b762de8, v58 op_sel_hi:[1,0]
	v_pk_mul_f16 v82, 0x39e9bbdd, v64 op_sel_hi:[1,0]
	v_pk_mul_f16 v84, 0xb1e1bbf7, v30
	v_add_f16_e32 v27, v28, v27
	v_pack_b32_f16 v29, v60, v60
	v_pack_b32_f16 v76, v43, v43
	;; [unrolled: 1-line block ×4, first 2 shown]
	v_add_f16_e32 v25, v27, v25
	v_pk_mul_f16 v27, 0xbacdb8d2, v59 op_sel_hi:[1,0]
	v_pk_mul_f16 v85, 0x3bb2ba62, v29
	v_pack_b32_f16 v77, v42, v42
	v_pk_mul_f16 v83, 0xbbdd39e9, v62 op_sel_hi:[1,0]
	v_add_f16_e32 v24, v25, v24
	v_pk_mul_f16 v78, 0xb8d2bacd, v56 op_sel_hi:[1,0]
	v_mul_f16_e32 v56, 0xb461, v56
	v_mul_f16_e32 v49, 0xbbb2, v49
	v_pk_mul_f16 v79, 0xb4613722, v57 op_sel_hi:[1,0]
	v_add_f16_e32 v23, v24, v23
	v_mul_f16_e32 v24, 0x3836, v47
	v_mul_f16_e32 v47, 0x39e9, v58
	;; [unrolled: 1-line block ×4, first 2 shown]
	v_add_f16_e32 v22, v23, v22
	v_mul_f16_e32 v23, 0xbb29, v44
	v_mul_f16_e32 v44, 0xbbdd, v63
	v_pk_mul_f16 v63, 0xbbf7b964, v31
	v_mul_f16_e32 v61, 0x2de8, v64
	v_add_f16_e32 v10, v22, v10
	v_pk_mul_f16 v22, 0xb964b5c8, v66
	v_pk_mul_f16 v64, 0xba62bb29, v70
	v_mul_f16_e32 v57, 0xbacd, v57
	v_mul_f16_e32 v45, 0x3964, v45
	v_add_f16_e32 v9, v10, v9
	v_fmamk_f16 v86, v65, 0x3b76, v22
	v_pk_fma_f16 v22, 0x39e93b76, v65, v22 neg_lo:[0,0,1] neg_hi:[0,0,1]
	v_pk_mul_f16 v10, 0x3836bbb2, v73
	v_pk_mul_f16 v87, 0xb461bbdd, v69
	v_add_f16_e32 v8, v9, v8
	v_fmamk_f16 v9, v68, 0x39e9, v63
	v_pk_fma_f16 v63, 0x2de839e9, v68, v63 neg_lo:[0,0,1] neg_hi:[0,0,1]
	v_add_f16_e32 v86, v2, v86
	v_pk_add_f16 v22, v67, v22
	v_add_f16_e32 v7, v7, v8
	v_fmamk_f16 v8, v69, 0x3722, v64
	v_pk_fma_f16 v64, 0xb8d23722, v69, v64 neg_lo:[0,0,1] neg_hi:[0,0,1]
	v_add_f16_e32 v9, v86, v9
	v_pk_add_f16 v22, v22, v63
	;; [unrolled: 5-line block ×4, first 2 shown]
	v_pk_mul_f16 v22, 0xbbf7bb29, v66
	v_add_f16_e32 v0, v0, v5
	v_mul_f16_e32 v5, 0x3bf7, v60
	v_add_f16_e32 v6, v7, v6
	v_pk_add_f16 v7, v8, v10
	v_fmamk_f16 v8, v74, 0xb8d2, v85
	v_pk_fma_f16 v10, 0xb461b8d2, v74, v85 neg_lo:[0,0,1] neg_hi:[0,0,1]
	v_pk_mul_f16 v60, 0x3b29b836, v76
	v_pk_mul_f16 v84, 0x3bb231e1, v70
	v_mul_f16_e32 v9, 0x3b76, v62
	v_add_f16_e32 v6, v8, v6
	v_pk_add_f16 v7, v10, v7
	v_pk_fma_f16 v8, 0x2de83722, v65, v22 neg_lo:[0,0,1] neg_hi:[0,0,1]
	v_pk_mul_f16 v10, 0xb1e1ba62, v31
	v_fmamk_f16 v62, v75, 0xbacd, v60
	v_pk_fma_f16 v60, 0x3722bacd, v75, v60 neg_lo:[0,0,1] neg_hi:[0,0,1]
	v_pk_mul_f16 v63, 0x35c8b1e1, v28
	v_pk_add_f16 v8, v67, v8
	v_pk_fma_f16 v64, 0xbbddb8d2, v68, v10 neg_lo:[0,0,1] neg_hi:[0,0,1]
	v_pk_mul_f16 v66, 0xb964bb29, v66
	v_pk_add_f16 v7, v60, v7
	v_pk_mul_f16 v60, 0x3b76bbdd, v77
	v_pk_fma_f16 v85, 0x3b76bbdd, v77, v63 neg_lo:[0,0,1] neg_hi:[0,0,1]
	v_pk_add_f16 v8, v8, v64
	v_pk_fma_f16 v64, 0xb461bbdd, v69, v84 neg_lo:[0,0,1] neg_hi:[0,0,1]
	v_add_f16_e32 v62, v62, v6
	v_pk_mul_f16 v31, 0xbbf7ba62, v31
	v_add_f16_e32 v60, v60, v63
	v_pk_add_f16 v63, v85, v7
	v_pk_add_f16 v6, v8, v64
	v_pk_mul_f16 v64, 0x2de83722, v65
	v_pk_fma_f16 v65, 0x39e93722, v65, v66
	v_pk_mul_f16 v85, 0xbbddb8d2, v68
	v_pk_fma_f16 v31, 0x2de8b8d2, v68, v31
	v_pk_mul_f16 v68, 0xba6231e1, v70
	v_pk_mul_f16 v86, 0x35c83bb2, v30
	v_pk_add_f16 v65, v67, v65
	v_pk_mul_f16 v30, 0xb1e13bb2, v30
	v_bfi_b32 v64, 0xffff, v56, v64
	v_bfi_b32 v22, 0xffff, v49, v22
	;; [unrolled: 1-line block ×3, first 2 shown]
	v_pk_add_f16 v31, v65, v31
	v_pk_fma_f16 v65, 0xb8d2bbdd, v69, v68
	v_pk_fma_f16 v30, 0xbbddb461, v71, v30
	v_pk_add_f16 v22, v64, v22
	v_bfi_b32 v64, 0xffff, v57, v85
	v_pk_mul_f16 v88, 0xb836b5c8, v29
	v_pk_add_f16 v31, v31, v65
	v_pk_mul_f16 v65, 0x38363964, v73
	v_pk_mul_f16 v89, 0x3b76b461, v71
	;; [unrolled: 1-line block ×3, first 2 shown]
	v_pk_add_f16 v22, v67, v22
	v_pk_add_f16 v30, v31, v30
	v_pk_fma_f16 v31, 0xbacd39e9, v72, v65
	v_pk_add_f16 v10, v64, v10
	v_bfi_b32 v64, 0xffff, v47, v87
	v_bfi_b32 v65, 0xffff, v45, v84
	v_pk_fma_f16 v7, 0x3b76b461, v71, v86 neg_lo:[0,0,1] neg_hi:[0,0,1]
	v_pk_mul_f16 v8, 0xbb293964, v73
	v_pk_mul_f16 v90, 0x372239e9, v72
	v_pk_add_f16 v30, v30, v31
	v_pk_fma_f16 v29, 0xb4613b76, v74, v29
	v_pk_mul_f16 v31, 0x3b29bbf7, v76
	v_pk_add_f16 v10, v22, v10
	v_pk_add_f16 v22, v64, v65
	v_bfi_b32 v64, 0xffff, v58, v89
	v_bfi_b32 v65, 0xffff, v23, v86
	v_pk_add_f16 v6, v6, v7
	v_pk_fma_f16 v7, 0x372239e9, v72, v8 neg_lo:[0,0,1] neg_hi:[0,0,1]
	v_pk_add_f16 v29, v29, v30
	v_pk_fma_f16 v30, 0x37222de8, v75, v31
	v_pk_add_f16 v10, v10, v22
	v_pk_add_f16 v22, v64, v65
	v_bfi_b32 v31, 0xffff, v44, v90
	v_bfi_b32 v8, 0xffff, v59, v8
	v_pk_add_f16 v29, v30, v29
	v_bfi_b32 v30, 0xffff, v49, v40
	v_pk_add_f16 v10, v10, v22
	;; [unrolled: 2-line block ×3, first 2 shown]
	v_bfi_b32 v24, 0xffff, v24, v39
	v_bfi_b32 v23, 0xffff, v23, v37
	v_pk_mul_f16 v25, 0x3722b461, v42 op_sel_hi:[1,0]
	v_pk_add_f16 v22, v22, v30 neg_lo:[0,1] neg_hi:[0,1]
	v_pk_add_f16 v8, v10, v8
	v_sub_f16_e32 v10, v78, v40
	v_bfi_b32 v30, 0xffff, v57, v79
	v_mul_f16_e32 v43, 0xb5c8, v43
	v_pk_add_f16 v22, v67, v22
	v_pk_add_f16 v6, v6, v7
	v_add_f16_e32 v2, v2, v10
	v_sub_f16_e32 v10, v79, v39
	v_pk_add_f16 v24, v30, v24 neg_lo:[0,1] neg_hi:[0,1]
	v_bfi_b32 v30, 0xffff, v47, v80
	v_bfi_b32 v39, 0xffff, v45, v38
	v_pk_fma_f16 v7, 0xbacd3b76, v74, v88 neg_lo:[0,0,1] neg_hi:[0,0,1]
	v_add_f16_e32 v2, v2, v10
	v_sub_f16_e32 v10, v80, v38
	v_pk_add_f16 v22, v22, v24
	v_pk_add_f16 v24, v30, v39 neg_lo:[0,1] neg_hi:[0,1]
	v_bfi_b32 v30, 0xffff, v58, v27
	v_pk_mul_f16 v91, 0x3a62bbf7, v76
	v_add_f16_e32 v2, v2, v10
	v_sub_f16_e32 v10, v27, v37
	v_pk_add_f16 v22, v22, v24
	v_pk_add_f16 v23, v30, v23 neg_lo:[0,1] neg_hi:[0,1]
	v_bfi_b32 v24, 0xffff, v44, v81
	v_bfi_b32 v27, 0xffff, v59, v36
	v_pk_mul_f16 v66, 0xbacd3b76, v74
	v_pk_mul_f16 v70, 0xb8d22de8, v75
	v_mul_f16_e32 v31, 0xb8d2, v42
	v_bfi_b32 v42, 0xffff, v5, v88
	v_add_f16_e32 v2, v2, v10
	v_sub_f16_e32 v10, v81, v36
	v_pk_add_f16 v22, v22, v23
	v_pk_add_f16 v23, v24, v27 neg_lo:[0,1] neg_hi:[0,1]
	v_bfi_b32 v24, 0xffff, v61, v82
	v_bfi_b32 v5, 0xffff, v5, v35
	v_pk_add_f16 v6, v7, v6
	v_pk_fma_f16 v7, 0xb8d22de8, v75, v91 neg_lo:[0,0,1] neg_hi:[0,0,1]
	v_mul_f16_e32 v41, 0xba62, v41
	v_bfi_b32 v40, 0xffff, v61, v66
	v_bfi_b32 v30, 0xffff, v9, v70
	v_add_f16_e32 v2, v2, v10
	v_sub_f16_e32 v10, v82, v35
	v_pk_add_f16 v22, v22, v23
	v_pk_add_f16 v5, v24, v5 neg_lo:[0,1] neg_hi:[0,1]
	v_bfi_b32 v9, 0xffff, v9, v83
	v_bfi_b32 v23, 0xffff, v43, v3
	v_pk_add_f16 v6, v7, v6
	v_pk_mul_f16 v7, 0x39e9bacd, v77
	v_pk_mul_f16 v68, 0x3964b836, v28
	v_pk_add_f16 v38, v40, v42
	v_bfi_b32 v27, 0xffff, v43, v91
	v_add_f16_e32 v2, v10, v2
	v_pk_add_f16 v5, v5, v22
	v_pk_add_f16 v9, v9, v23 neg_lo:[0,1] neg_hi:[0,1]
	v_bfi_b32 v10, 0xffff, v31, v25
	v_bfi_b32 v22, 0xffff, v41, v34
	v_sub_f16_e32 v3, v83, v3
	v_pk_fma_f16 v64, 0x39e9bacd, v77, v68 neg_lo:[0,0,1] neg_hi:[0,0,1]
	v_pk_add_f16 v8, v38, v8
	v_pk_add_f16 v24, v30, v27
	v_bfi_b32 v7, 0xffff, v31, v7
	v_bfi_b32 v23, 0xffff, v41, v68
	v_pk_add_f16 v5, v9, v5
	v_pk_add_f16 v9, v10, v22 neg_lo:[0,1] neg_hi:[0,1]
	v_add_f16_e32 v2, v3, v2
	v_sub_f16_e32 v3, v25, v34
	v_pk_mul_f16 v28, 0x35c8b836, v28
	v_pk_add_f16 v8, v24, v8
	v_pk_add_f16 v7, v7, v23
	;; [unrolled: 1-line block ×3, first 2 shown]
	v_lshlrev_b32_e32 v5, 5, v15
	v_add_f16_e32 v10, v3, v2
	v_pk_add_f16 v6, v64, v6
	v_pk_fma_f16 v28, 0x3b76bacd, v77, v28
	v_pk_add_f16 v2, v7, v8
	v_add3_u32 v8, v4, v5, v17
	v_alignbit_b32 v7, v10, v9, 16
	v_alignbit_b32 v5, v6, v63, 16
	;; [unrolled: 1-line block ×3, first 2 shown]
	v_pack_b32_f16 v4, v0, v63
	v_pk_add_f16 v3, v28, v29
	v_perm_b32 v0, v33, v32, 0x5040100
	v_add_f16_e32 v9, v60, v62
	ds_store_b128 v8, v[4:7]
	ds_store_b128 v8, v[0:3] offset:16
	ds_store_b16 v8, v9 offset:32
.LBB0_18:
	s_wait_alu 0xfffe
	s_or_b32 exec_lo, exec_lo, s4
	global_wb scope:SCOPE_SE
	s_wait_dscnt 0x0
	s_barrier_signal -1
	s_barrier_wait -1
	global_inv scope:SCOPE_SE
	ds_load_u16 v0, v26
	ds_load_u16 v25, v21 offset:1156
	ds_load_u16 v28, v21 offset:1020
	;; [unrolled: 1-line block ×7, first 2 shown]
	s_and_saveexec_b32 s1, s0
	s_cbranch_execz .LBB0_20
; %bb.19:
	ds_load_u16 v1, v21 offset:952
	ds_load_u16 v32, v21 offset:272
	;; [unrolled: 1-line block ×3, first 2 shown]
	s_wait_dscnt 0x2
	ds_load_u16_d16_hi v1, v21 offset:1292
.LBB0_20:
	s_wait_alu 0xfffe
	s_or_b32 exec_lo, exec_lo, s1
	v_and_b32_e32 v2, 0xff, v15
	v_add_nc_u16 v3, v15, 0x44
	v_add_nc_u16 v4, v15, 0x88
	s_wait_dscnt 0x0
	v_lshrrev_b32_e32 v41, 16, v1
	v_mul_lo_u16 v2, 0xf1, v2
	v_and_b32_e32 v5, 0xff, v3
	s_delay_alu instid0(VALU_DEP_2) | instskip(SKIP_1) | instid1(VALU_DEP_3)
	v_lshrrev_b16 v30, 12, v2
	v_and_b32_e32 v2, 0xff, v4
	v_mul_lo_u16 v5, 0xf1, v5
	s_delay_alu instid0(VALU_DEP_3) | instskip(NEXT) | instid1(VALU_DEP_3)
	v_mul_lo_u16 v6, v30, 17
	v_mul_lo_u16 v2, 0xf1, v2
	s_delay_alu instid0(VALU_DEP_3)
	v_lshrrev_b16 v31, 12, v5
	v_and_b32_e32 v38, 0xffff, v30
	v_lshrrev_b32_e32 v30, 16, v20
	v_sub_nc_u16 v5, v15, v6
	v_lshrrev_b16 v34, 12, v2
	v_mul_lo_u16 v2, v31, 17
	v_and_b32_e32 v31, 0xffff, v31
	v_mad_u32_u24 v38, 0x88, v38, 0
	v_and_b32_e32 v35, 0xff, v5
	v_mul_lo_u16 v5, v34, 17
	v_sub_nc_u16 v2, v3, v2
	v_mad_u32_u24 v39, 0x88, v31, 0
	v_and_b32_e32 v34, 0xffff, v34
	v_mul_u32_u24_e32 v3, 3, v35
	v_sub_nc_u16 v4, v4, v5
	v_and_b32_e32 v36, 0xff, v2
	v_lshlrev_b32_e32 v35, 1, v35
	s_delay_alu instid0(VALU_DEP_4) | instskip(NEXT) | instid1(VALU_DEP_4)
	v_lshlrev_b32_e32 v2, 2, v3
	v_and_b32_e32 v37, 0xff, v4
	s_delay_alu instid0(VALU_DEP_4)
	v_mul_u32_u24_e32 v3, 3, v36
	v_lshlrev_b32_e32 v40, 1, v36
	v_add3_u32 v36, v38, v35, v17
	global_load_b96 v[8:10], v2, s[8:9]
	v_mul_u32_u24_e32 v2, 3, v37
	v_lshlrev_b32_e32 v3, 2, v3
	v_lshlrev_b32_e32 v31, 1, v37
	v_add3_u32 v35, v39, v40, v17
	s_delay_alu instid0(VALU_DEP_4)
	v_lshlrev_b32_e32 v2, 2, v2
	s_clause 0x1
	global_load_b96 v[5:7], v3, s[8:9]
	global_load_b96 v[2:4], v2, s[8:9]
	global_wb scope:SCOPE_SE
	s_wait_loadcnt 0x0
	s_barrier_signal -1
	s_barrier_wait -1
	global_inv scope:SCOPE_SE
	v_lshrrev_b32_e32 v37, 16, v8
	v_lshrrev_b32_e32 v39, 16, v10
	;; [unrolled: 1-line block ×3, first 2 shown]
	s_delay_alu instid0(VALU_DEP_3) | instskip(SKIP_1) | instid1(VALU_DEP_4)
	v_mul_f16_e32 v40, v29, v37
	v_mul_f16_e32 v42, v55, v37
	;; [unrolled: 1-line block ×4, first 2 shown]
	v_lshrrev_b32_e32 v47, 16, v5
	v_lshrrev_b32_e32 v39, 16, v6
	;; [unrolled: 1-line block ×3, first 2 shown]
	v_mul_f16_e32 v43, v24, v38
	v_lshrrev_b32_e32 v56, 16, v2
	v_fmac_f16_e32 v40, v55, v8
	v_fma_f16 v8, v29, v8, -v42
	v_fma_f16 v28, v28, v10, -v45
	v_mul_f16_e32 v29, v27, v47
	v_mul_f16_e32 v42, v53, v47
	;; [unrolled: 1-line block ×4, first 2 shown]
	v_lshrrev_b32_e32 v57, 16, v4
	v_fmac_f16_e32 v43, v48, v9
	v_fmac_f16_e32 v44, v54, v10
	v_mul_f16_e32 v10, v33, v56
	v_mul_f16_e32 v54, v20, v56
	;; [unrolled: 1-line block ×3, first 2 shown]
	v_fmac_f16_e32 v29, v53, v5
	v_fmac_f16_e32 v45, v46, v6
	;; [unrolled: 1-line block ×3, first 2 shown]
	v_mul_f16_e32 v55, v41, v57
	v_mul_f16_e32 v56, v19, v57
	v_fma_f16 v5, v27, v5, -v42
	v_fmac_f16_e32 v10, v20, v2
	v_sub_f16_e32 v42, v50, v43
	v_fma_f16 v20, v33, v2, -v54
	v_sub_f16_e32 v2, v40, v44
	v_fma_f16 v25, v25, v7, -v49
	v_sub_f16_e32 v43, v51, v45
	v_sub_f16_e32 v27, v29, v47
	v_fmac_f16_e32 v55, v19, v4
	v_fma_f16 v33, v41, v4, -v56
	v_fma_f16 v41, v50, 2.0, -v42
	v_fma_f16 v19, v40, 2.0, -v2
	v_sub_f16_e32 v7, v8, v28
	v_sub_f16_e32 v4, v5, v25
	v_fma_f16 v28, v51, 2.0, -v43
	v_fma_f16 v25, v29, 2.0, -v27
	v_sub_f16_e32 v29, v41, v19
	v_add_f16_e32 v40, v42, v7
	v_lshrrev_b32_e32 v37, 16, v3
	v_sub_f16_e32 v19, v10, v55
	v_sub_f16_e32 v45, v28, v25
	v_add_f16_e32 v44, v43, v4
	v_fma_f16 v41, v41, 2.0, -v29
	v_sub_f16_e32 v25, v20, v33
	v_fma_f16 v42, v42, 2.0, -v40
	v_fma_f16 v28, v28, 2.0, -v45
	;; [unrolled: 1-line block ×3, first 2 shown]
	ds_store_b16 v36, v41
	ds_store_b16 v36, v42 offset:34
	ds_store_b16 v36, v29 offset:68
	;; [unrolled: 1-line block ×3, first 2 shown]
	ds_store_b16 v35, v28
	ds_store_b16 v35, v33 offset:34
	ds_store_b16 v35, v45 offset:68
	;; [unrolled: 1-line block ×3, first 2 shown]
	s_and_saveexec_b32 s1, s0
	s_cbranch_execz .LBB0_22
; %bb.21:
	v_mul_f16_e32 v28, v1, v37
	v_fma_f16 v10, v10, 2.0, -v19
	v_mad_u32_u24 v29, 0x88, v34, 0
	s_delay_alu instid0(VALU_DEP_3) | instskip(NEXT) | instid1(VALU_DEP_2)
	v_fmac_f16_e32 v28, v30, v3
	v_add3_u32 v29, v29, v31, v17
	s_delay_alu instid0(VALU_DEP_2) | instskip(NEXT) | instid1(VALU_DEP_1)
	v_sub_f16_e32 v28, v18, v28
	v_fma_f16 v18, v18, 2.0, -v28
	v_add_f16_e32 v33, v28, v25
	s_delay_alu instid0(VALU_DEP_2) | instskip(NEXT) | instid1(VALU_DEP_2)
	v_sub_f16_e32 v10, v18, v10
	v_fma_f16 v28, v28, 2.0, -v33
	s_delay_alu instid0(VALU_DEP_2)
	v_fma_f16 v18, v18, 2.0, -v10
	ds_store_b16 v29, v18
	ds_store_b16 v29, v28 offset:34
	ds_store_b16 v29, v10 offset:68
	;; [unrolled: 1-line block ×3, first 2 shown]
.LBB0_22:
	s_wait_alu 0xfffe
	s_or_b32 exec_lo, exec_lo, s1
	v_mul_f16_e32 v10, v48, v38
	v_mul_f16_e32 v18, v46, v39
	v_fma_f16 v7, v8, 2.0, -v7
	global_wb scope:SCOPE_SE
	s_wait_dscnt 0x0
	s_barrier_signal -1
	v_fma_f16 v9, v24, v9, -v10
	v_fma_f16 v6, v23, v6, -v18
	v_fma_f16 v24, v5, 2.0, -v4
	s_barrier_wait -1
	global_inv scope:SCOPE_SE
	v_sub_f16_e32 v23, v0, v9
	v_sub_f16_e32 v28, v22, v6
	s_delay_alu instid0(VALU_DEP_2) | instskip(SKIP_1) | instid1(VALU_DEP_3)
	v_fma_f16 v29, v0, 2.0, -v23
	v_sub_f16_e32 v33, v23, v2
	v_fma_f16 v22, v22, 2.0, -v28
	v_sub_f16_e32 v27, v28, v27
	s_delay_alu instid0(VALU_DEP_4)
	v_sub_f16_e32 v38, v29, v7
	ds_load_u16 v0, v26
	ds_load_u16 v6, v21 offset:136
	ds_load_u16 v2, v21 offset:272
	;; [unrolled: 1-line block ×9, first 2 shown]
	v_sub_f16_e32 v24, v22, v24
	v_fma_f16 v23, v23, 2.0, -v33
	v_fma_f16 v28, v28, 2.0, -v27
	;; [unrolled: 1-line block ×3, first 2 shown]
	global_wb scope:SCOPE_SE
	s_wait_dscnt 0x0
	v_fma_f16 v22, v22, 2.0, -v24
	s_barrier_signal -1
	s_barrier_wait -1
	global_inv scope:SCOPE_SE
	ds_store_b16 v36, v29
	ds_store_b16 v36, v23 offset:34
	ds_store_b16 v36, v38 offset:68
	;; [unrolled: 1-line block ×3, first 2 shown]
	ds_store_b16 v35, v22
	ds_store_b16 v35, v28 offset:34
	ds_store_b16 v35, v24 offset:68
	ds_store_b16 v35, v27 offset:102
	s_and_saveexec_b32 s1, s0
	s_cbranch_execz .LBB0_24
; %bb.23:
	v_mul_f16_e32 v22, v30, v37
	s_delay_alu instid0(VALU_DEP_1) | instskip(SKIP_2) | instid1(VALU_DEP_3)
	v_fma_f16 v1, v1, v3, -v22
	v_fma_f16 v3, v20, 2.0, -v25
	v_mad_u32_u24 v22, 0x88, v34, 0
	v_sub_f16_e32 v1, v32, v1
	s_delay_alu instid0(VALU_DEP_2) | instskip(NEXT) | instid1(VALU_DEP_2)
	v_add3_u32 v17, v22, v31, v17
	v_fma_f16 v20, v32, 2.0, -v1
	v_sub_f16_e32 v19, v1, v19
	s_delay_alu instid0(VALU_DEP_2) | instskip(NEXT) | instid1(VALU_DEP_2)
	v_sub_f16_e32 v3, v20, v3
	v_fma_f16 v1, v1, 2.0, -v19
	s_delay_alu instid0(VALU_DEP_2)
	v_fma_f16 v20, v20, 2.0, -v3
	ds_store_b16 v17, v20
	ds_store_b16 v17, v1 offset:34
	ds_store_b16 v17, v3 offset:68
	ds_store_b16 v17, v19 offset:102
.LBB0_24:
	s_wait_alu 0xfffe
	s_or_b32 exec_lo, exec_lo, s1
	global_wb scope:SCOPE_SE
	s_wait_dscnt 0x0
	s_barrier_signal -1
	s_barrier_wait -1
	global_inv scope:SCOPE_SE
	s_and_saveexec_b32 s0, vcc_lo
	s_cbranch_execz .LBB0_26
; %bb.25:
	v_mul_u32_u24_e32 v1, 9, v15
	v_mul_lo_u32 v3, s3, v13
	v_mul_lo_u32 v15, s2, v14
	v_mad_co_u64_u32 v[13:14], null, s2, v13, 0
	s_delay_alu instid0(VALU_DEP_4)
	v_lshlrev_b32_e32 v1, 2, v1
	v_mov_b32_e32 v17, 0
	v_lshlrev_b64_e32 v[11:12], 2, v[11:12]
	s_clause 0x2
	global_load_b128 v[22:25], v1, s[8:9] offset:204
	global_load_b128 v[27:30], v1, s[8:9] offset:220
	global_load_b32 v1, v1, s[8:9] offset:236
	v_add3_u32 v14, v14, v15, v3
	ds_load_u16 v19, v26
	ds_load_u16 v20, v21 offset:952
	ds_load_u16 v3, v21 offset:816
	;; [unrolled: 1-line block ×7, first 2 shown]
	v_lshlrev_b64_e32 v[13:14], 2, v[13:14]
	s_delay_alu instid0(VALU_DEP_1) | instskip(SKIP_1) | instid1(VALU_DEP_2)
	v_add_co_u32 v34, vcc_lo, s6, v13
	s_wait_alu 0xfffd
	v_add_co_ci_u32_e32 v35, vcc_lo, s7, v14, vcc_lo
	v_lshlrev_b64_e32 v[13:14], 2, v[16:17]
	ds_load_u16 v16, v21 offset:272
	ds_load_u16 v17, v21 offset:136
	v_add_co_u32 v11, vcc_lo, v34, v11
	s_wait_alu 0xfffd
	v_add_co_ci_u32_e32 v12, vcc_lo, v35, v12, vcc_lo
	s_delay_alu instid0(VALU_DEP_2) | instskip(SKIP_1) | instid1(VALU_DEP_2)
	v_add_co_u32 v11, vcc_lo, v11, v13
	s_wait_alu 0xfffd
	v_add_co_ci_u32_e32 v12, vcc_lo, v12, v14, vcc_lo
	s_wait_loadcnt 0x2
	v_lshrrev_b32_e32 v21, 16, v24
	s_wait_loadcnt 0x1
	v_lshrrev_b32_e32 v35, 16, v27
	v_lshrrev_b32_e32 v37, 16, v29
	;; [unrolled: 1-line block ×3, first 2 shown]
	s_wait_loadcnt 0x0
	v_lshrrev_b32_e32 v41, 16, v1
	v_lshrrev_b32_e32 v13, 16, v22
	;; [unrolled: 1-line block ×5, first 2 shown]
	v_mul_f16_e32 v39, v8, v24
	v_mul_f16_e32 v40, v9, v27
	;; [unrolled: 1-line block ×6, first 2 shown]
	s_wait_dscnt 0x3
	v_mul_f16_e32 v38, v32, v38
	v_mul_f16_e32 v8, v8, v21
	;; [unrolled: 1-line block ×8, first 2 shown]
	s_wait_dscnt 0x1
	v_mul_f16_e32 v14, v16, v14
	v_mul_f16_e32 v34, v26, v34
	;; [unrolled: 1-line block ×3, first 2 shown]
	v_fmac_f16_e32 v39, v31, v21
	v_fmac_f16_e32 v40, v15, v35
	;; [unrolled: 1-line block ×4, first 2 shown]
	s_wait_dscnt 0x0
	v_fmac_f16_e32 v44, v17, v13
	v_mul_f16_e32 v6, v6, v13
	v_fmac_f16_e32 v38, v7, v30
	v_fma_f16 v7, v31, v24, -v8
	v_fma_f16 v1, v33, v1, -v18
	;; [unrolled: 1-line block ×5, first 2 shown]
	v_fmac_f16_e32 v14, v2, v23
	v_fmac_f16_e32 v34, v4, v25
	;; [unrolled: 1-line block ×3, first 2 shown]
	v_sub_f16_e32 v2, v39, v40
	v_sub_f16_e32 v4, v42, v43
	v_add_f16_e32 v5, v40, v43
	v_fma_f16 v6, v17, v22, -v6
	v_sub_f16_e32 v10, v39, v42
	v_sub_f16_e32 v17, v40, v39
	;; [unrolled: 1-line block ×3, first 2 shown]
	v_add_f16_e32 v20, v39, v42
	v_add_f16_e32 v22, v39, v44
	v_sub_f16_e32 v29, v7, v8
	v_sub_f16_e32 v30, v1, v9
	v_add_f16_e32 v31, v8, v9
	v_add_f16_e32 v39, v7, v1
	v_fma_f16 v13, v16, v23, -v45
	v_fma_f16 v16, v26, v25, -v46
	;; [unrolled: 1-line block ×3, first 2 shown]
	v_sub_f16_e32 v15, v40, v43
	v_add_f16_e32 v2, v2, v4
	v_fma_f16 v4, -0.5, v5, v44
	v_sub_f16_e32 v5, v7, v1
	v_add_f16_e32 v17, v17, v18
	v_fma_f16 v18, -0.5, v20, v44
	v_sub_f16_e32 v20, v8, v7
	v_sub_f16_e32 v37, v9, v1
	v_add_f16_e32 v7, v7, v6
	v_add_f16_e32 v29, v29, v30
	v_fma_f16 v30, -0.5, v31, v6
	v_fma_f16 v6, -0.5, v39, v6
	v_sub_f16_e32 v23, v13, v16
	v_sub_f16_e32 v24, v21, v3
	v_add_f16_e32 v25, v16, v3
	v_sub_f16_e32 v26, v14, v38
	v_sub_f16_e32 v28, v8, v9
	;; [unrolled: 1-line block ×4, first 2 shown]
	v_add_f16_e32 v41, v13, v19
	v_sub_f16_e32 v44, v14, v34
	v_add_f16_e32 v46, v34, v36
	v_sub_f16_e32 v48, v34, v14
	v_add_f16_e32 v50, v14, v38
	v_add_f16_e32 v14, v0, v14
	;; [unrolled: 1-line block ×5, first 2 shown]
	v_fmamk_f16 v37, v10, 0xbb9c, v30
	v_fmamk_f16 v40, v15, 0x3b9c, v6
	v_fmac_f16_e32 v6, 0xbb9c, v15
	v_fmac_f16_e32 v30, 0x3b9c, v10
	v_sub_f16_e32 v13, v13, v21
	v_sub_f16_e32 v47, v16, v3
	v_add_f16_e32 v23, v23, v24
	v_fma_f16 v24, -0.5, v25, v19
	v_fmamk_f16 v25, v5, 0x3b9c, v4
	v_add_f16_e32 v31, v32, v33
	v_fmamk_f16 v32, v28, 0xbb9c, v18
	v_fmac_f16_e32 v18, 0x3b9c, v28
	v_fmac_f16_e32 v4, 0xbb9c, v5
	v_add_f16_e32 v16, v16, v41
	v_add_f16_e32 v7, v8, v7
	v_fma_f16 v33, -0.5, v46, v0
	v_add_f16_e32 v14, v14, v34
	v_sub_f16_e32 v27, v34, v36
	v_fma_f16 v19, -0.5, v35, v19
	v_fma_f16 v0, -0.5, v50, v0
	v_fmac_f16_e32 v6, 0x38b4, v10
	v_fmac_f16_e32 v30, 0x38b4, v15
	v_sub_f16_e32 v45, v38, v36
	v_add_f16_e32 v22, v43, v22
	v_fmac_f16_e32 v25, 0x38b4, v28
	v_fmac_f16_e32 v32, 0x38b4, v5
	;; [unrolled: 1-line block ×4, first 2 shown]
	v_add_f16_e32 v3, v3, v16
	v_add_f16_e32 v5, v9, v7
	v_fmamk_f16 v7, v13, 0x3b9c, v33
	v_fmac_f16_e32 v33, 0xbb9c, v13
	v_add_f16_e32 v14, v14, v36
	v_fmac_f16_e32 v40, 0xb8b4, v10
	v_fmac_f16_e32 v37, 0xb8b4, v15
	v_fmamk_f16 v34, v26, 0xbb9c, v24
	v_fmamk_f16 v39, v27, 0x3b9c, v19
	v_fmac_f16_e32 v19, 0xbb9c, v27
	v_fmac_f16_e32 v24, 0x3b9c, v26
	v_fmamk_f16 v9, v47, 0xbb9c, v0
	v_fmac_f16_e32 v0, 0x3b9c, v47
	v_fmac_f16_e32 v6, 0x34f2, v20
	;; [unrolled: 1-line block ×3, first 2 shown]
	v_sub_f16_e32 v49, v36, v38
	v_add_f16_e32 v8, v44, v45
	v_add_f16_e32 v16, v42, v22
	v_fmac_f16_e32 v25, 0x34f2, v2
	v_fmac_f16_e32 v4, 0x34f2, v2
	v_add_f16_e32 v2, v21, v3
	v_add_f16_e32 v1, v1, v5
	v_fmac_f16_e32 v7, 0x38b4, v47
	v_fmac_f16_e32 v33, 0xb8b4, v47
	v_add_f16_e32 v3, v38, v14
	v_fmac_f16_e32 v40, 0x34f2, v20
	v_fmac_f16_e32 v37, 0x34f2, v29
	;; [unrolled: 1-line block ×8, first 2 shown]
	v_mul_f16_e32 v13, 0x34f2, v6
	v_mul_f16_e32 v14, 0x3a79, v30
	;; [unrolled: 1-line block ×3, first 2 shown]
	v_add_f16_e32 v35, v48, v49
	v_mul_f16_e32 v6, 0xbb9c, v6
	v_fmac_f16_e32 v39, 0xb8b4, v26
	v_sub_f16_e32 v5, v2, v1
	v_fmac_f16_e32 v7, 0x34f2, v8
	v_fmac_f16_e32 v33, 0x34f2, v8
	v_sub_f16_e32 v8, v3, v16
	v_add_f16_e32 v1, v2, v1
	v_add_f16_e32 v2, v3, v16
	v_mul_f16_e32 v10, 0xb4f2, v40
	v_mul_f16_e32 v16, 0xbb9c, v40
	v_fmac_f16_e32 v34, 0xb8b4, v27
	v_mul_f16_e32 v3, 0xba79, v37
	v_mul_f16_e32 v15, 0xb8b4, v37
	v_fmac_f16_e32 v19, 0x34f2, v31
	v_fmac_f16_e32 v24, 0x34f2, v23
	;; [unrolled: 1-line block ×14, first 2 shown]
	v_pack_b32_f16 v1, v2, v1
	v_pack_b32_f16 v2, v8, v5
	v_sub_f16_e32 v8, v19, v13
	v_sub_f16_e32 v18, v24, v14
	v_add_f16_e32 v13, v19, v13
	v_add_f16_e32 v14, v24, v14
	;; [unrolled: 1-line block ×3, first 2 shown]
	v_sub_f16_e32 v22, v0, v6
	v_add_f16_e32 v0, v0, v6
	v_sub_f16_e32 v5, v39, v10
	v_add_f16_e32 v10, v39, v10
	v_add_f16_e32 v6, v9, v16
	v_sub_f16_e32 v4, v34, v3
	v_sub_f16_e32 v20, v7, v15
	v_add_f16_e32 v3, v34, v3
	v_add_f16_e32 v7, v7, v15
	v_sub_f16_e32 v21, v9, v16
	v_sub_f16_e32 v9, v33, v17
	v_pack_b32_f16 v14, v19, v14
	v_pack_b32_f16 v0, v0, v13
	;; [unrolled: 1-line block ×8, first 2 shown]
	s_clause 0x9
	global_store_b32 v[11:12], v1, off
	global_store_b32 v[11:12], v14, off offset:272
	global_store_b32 v[11:12], v0, off offset:544
	;; [unrolled: 1-line block ×9, first 2 shown]
.LBB0_26:
	s_nop 0
	s_sendmsg sendmsg(MSG_DEALLOC_VGPRS)
	s_endpgm
	.section	.rodata,"a",@progbits
	.p2align	6, 0x0
	.amdhsa_kernel fft_rtc_back_len680_factors_17_4_10_wgs_204_tpt_68_halfLds_half_op_CI_CI_unitstride_sbrr_dirReg
		.amdhsa_group_segment_fixed_size 0
		.amdhsa_private_segment_fixed_size 0
		.amdhsa_kernarg_size 104
		.amdhsa_user_sgpr_count 2
		.amdhsa_user_sgpr_dispatch_ptr 0
		.amdhsa_user_sgpr_queue_ptr 0
		.amdhsa_user_sgpr_kernarg_segment_ptr 1
		.amdhsa_user_sgpr_dispatch_id 0
		.amdhsa_user_sgpr_private_segment_size 0
		.amdhsa_wavefront_size32 1
		.amdhsa_uses_dynamic_stack 0
		.amdhsa_enable_private_segment 0
		.amdhsa_system_sgpr_workgroup_id_x 1
		.amdhsa_system_sgpr_workgroup_id_y 0
		.amdhsa_system_sgpr_workgroup_id_z 0
		.amdhsa_system_sgpr_workgroup_info 0
		.amdhsa_system_vgpr_workitem_id 0
		.amdhsa_next_free_vgpr 106
		.amdhsa_next_free_sgpr 39
		.amdhsa_reserve_vcc 1
		.amdhsa_float_round_mode_32 0
		.amdhsa_float_round_mode_16_64 0
		.amdhsa_float_denorm_mode_32 3
		.amdhsa_float_denorm_mode_16_64 3
		.amdhsa_fp16_overflow 0
		.amdhsa_workgroup_processor_mode 1
		.amdhsa_memory_ordered 1
		.amdhsa_forward_progress 0
		.amdhsa_round_robin_scheduling 0
		.amdhsa_exception_fp_ieee_invalid_op 0
		.amdhsa_exception_fp_denorm_src 0
		.amdhsa_exception_fp_ieee_div_zero 0
		.amdhsa_exception_fp_ieee_overflow 0
		.amdhsa_exception_fp_ieee_underflow 0
		.amdhsa_exception_fp_ieee_inexact 0
		.amdhsa_exception_int_div_zero 0
	.end_amdhsa_kernel
	.text
.Lfunc_end0:
	.size	fft_rtc_back_len680_factors_17_4_10_wgs_204_tpt_68_halfLds_half_op_CI_CI_unitstride_sbrr_dirReg, .Lfunc_end0-fft_rtc_back_len680_factors_17_4_10_wgs_204_tpt_68_halfLds_half_op_CI_CI_unitstride_sbrr_dirReg
                                        ; -- End function
	.section	.AMDGPU.csdata,"",@progbits
; Kernel info:
; codeLenInByte = 10860
; NumSgprs: 41
; NumVgprs: 106
; ScratchSize: 0
; MemoryBound: 0
; FloatMode: 240
; IeeeMode: 1
; LDSByteSize: 0 bytes/workgroup (compile time only)
; SGPRBlocks: 5
; VGPRBlocks: 13
; NumSGPRsForWavesPerEU: 41
; NumVGPRsForWavesPerEU: 106
; Occupancy: 12
; WaveLimiterHint : 1
; COMPUTE_PGM_RSRC2:SCRATCH_EN: 0
; COMPUTE_PGM_RSRC2:USER_SGPR: 2
; COMPUTE_PGM_RSRC2:TRAP_HANDLER: 0
; COMPUTE_PGM_RSRC2:TGID_X_EN: 1
; COMPUTE_PGM_RSRC2:TGID_Y_EN: 0
; COMPUTE_PGM_RSRC2:TGID_Z_EN: 0
; COMPUTE_PGM_RSRC2:TIDIG_COMP_CNT: 0
	.text
	.p2alignl 7, 3214868480
	.fill 96, 4, 3214868480
	.type	__hip_cuid_916238b2a9318da0,@object ; @__hip_cuid_916238b2a9318da0
	.section	.bss,"aw",@nobits
	.globl	__hip_cuid_916238b2a9318da0
__hip_cuid_916238b2a9318da0:
	.byte	0                               ; 0x0
	.size	__hip_cuid_916238b2a9318da0, 1

	.ident	"AMD clang version 19.0.0git (https://github.com/RadeonOpenCompute/llvm-project roc-6.4.0 25133 c7fe45cf4b819c5991fe208aaa96edf142730f1d)"
	.section	".note.GNU-stack","",@progbits
	.addrsig
	.addrsig_sym __hip_cuid_916238b2a9318da0
	.amdgpu_metadata
---
amdhsa.kernels:
  - .args:
      - .actual_access:  read_only
        .address_space:  global
        .offset:         0
        .size:           8
        .value_kind:     global_buffer
      - .offset:         8
        .size:           8
        .value_kind:     by_value
      - .actual_access:  read_only
        .address_space:  global
        .offset:         16
        .size:           8
        .value_kind:     global_buffer
      - .actual_access:  read_only
        .address_space:  global
        .offset:         24
        .size:           8
        .value_kind:     global_buffer
      - .actual_access:  read_only
        .address_space:  global
        .offset:         32
        .size:           8
        .value_kind:     global_buffer
      - .offset:         40
        .size:           8
        .value_kind:     by_value
      - .actual_access:  read_only
        .address_space:  global
        .offset:         48
        .size:           8
        .value_kind:     global_buffer
      - .actual_access:  read_only
        .address_space:  global
        .offset:         56
        .size:           8
        .value_kind:     global_buffer
      - .offset:         64
        .size:           4
        .value_kind:     by_value
      - .actual_access:  read_only
        .address_space:  global
        .offset:         72
        .size:           8
        .value_kind:     global_buffer
      - .actual_access:  read_only
        .address_space:  global
        .offset:         80
        .size:           8
        .value_kind:     global_buffer
      - .actual_access:  read_only
        .address_space:  global
        .offset:         88
        .size:           8
        .value_kind:     global_buffer
      - .actual_access:  write_only
        .address_space:  global
        .offset:         96
        .size:           8
        .value_kind:     global_buffer
    .group_segment_fixed_size: 0
    .kernarg_segment_align: 8
    .kernarg_segment_size: 104
    .language:       OpenCL C
    .language_version:
      - 2
      - 0
    .max_flat_workgroup_size: 204
    .name:           fft_rtc_back_len680_factors_17_4_10_wgs_204_tpt_68_halfLds_half_op_CI_CI_unitstride_sbrr_dirReg
    .private_segment_fixed_size: 0
    .sgpr_count:     41
    .sgpr_spill_count: 0
    .symbol:         fft_rtc_back_len680_factors_17_4_10_wgs_204_tpt_68_halfLds_half_op_CI_CI_unitstride_sbrr_dirReg.kd
    .uniform_work_group_size: 1
    .uses_dynamic_stack: false
    .vgpr_count:     106
    .vgpr_spill_count: 0
    .wavefront_size: 32
    .workgroup_processor_mode: 1
amdhsa.target:   amdgcn-amd-amdhsa--gfx1201
amdhsa.version:
  - 1
  - 2
...

	.end_amdgpu_metadata
